;; amdgpu-corpus repo=ROCm/rocFFT kind=compiled arch=gfx950 opt=O3
	.text
	.amdgcn_target "amdgcn-amd-amdhsa--gfx950"
	.amdhsa_code_object_version 6
	.protected	fft_rtc_fwd_len728_factors_13_7_8_wgs_104_tpt_104_halfLds_dp_op_CI_CI_unitstride_sbrr_dirReg ; -- Begin function fft_rtc_fwd_len728_factors_13_7_8_wgs_104_tpt_104_halfLds_dp_op_CI_CI_unitstride_sbrr_dirReg
	.globl	fft_rtc_fwd_len728_factors_13_7_8_wgs_104_tpt_104_halfLds_dp_op_CI_CI_unitstride_sbrr_dirReg
	.p2align	8
	.type	fft_rtc_fwd_len728_factors_13_7_8_wgs_104_tpt_104_halfLds_dp_op_CI_CI_unitstride_sbrr_dirReg,@function
fft_rtc_fwd_len728_factors_13_7_8_wgs_104_tpt_104_halfLds_dp_op_CI_CI_unitstride_sbrr_dirReg: ; @fft_rtc_fwd_len728_factors_13_7_8_wgs_104_tpt_104_halfLds_dp_op_CI_CI_unitstride_sbrr_dirReg
; %bb.0:
	s_load_dwordx4 s[4:7], s[0:1], 0x58
	s_load_dwordx4 s[8:11], s[0:1], 0x0
	;; [unrolled: 1-line block ×3, first 2 shown]
	v_mul_u32_u24_e32 v1, 0x277, v0
	v_add_u32_sdwa v6, s2, v1 dst_sel:DWORD dst_unused:UNUSED_PAD src0_sel:DWORD src1_sel:WORD_1
	v_mov_b32_e32 v4, 0
	s_waitcnt lgkmcnt(0)
	v_cmp_lt_u64_e64 s[2:3], s[10:11], 2
	v_mov_b32_e32 v7, v4
	s_and_b64 vcc, exec, s[2:3]
	v_mov_b64_e32 v[2:3], 0
	s_cbranch_vccnz .LBB0_8
; %bb.1:
	s_load_dwordx2 s[2:3], s[0:1], 0x10
	s_add_u32 s16, s14, 8
	s_addc_u32 s17, s15, 0
	s_add_u32 s18, s12, 8
	s_addc_u32 s19, s13, 0
	s_waitcnt lgkmcnt(0)
	s_add_u32 s20, s2, 8
	v_mov_b64_e32 v[2:3], 0
	s_addc_u32 s21, s3, 0
	s_mov_b64 s[22:23], 1
	v_mov_b64_e32 v[66:67], v[2:3]
.LBB0_2:                                ; =>This Inner Loop Header: Depth=1
	s_load_dwordx2 s[24:25], s[20:21], 0x0
                                        ; implicit-def: $vgpr70_vgpr71
	s_waitcnt lgkmcnt(0)
	v_or_b32_e32 v5, s25, v7
	v_cmp_ne_u64_e32 vcc, 0, v[4:5]
	s_and_saveexec_b64 s[2:3], vcc
	s_xor_b64 s[26:27], exec, s[2:3]
	s_cbranch_execz .LBB0_4
; %bb.3:                                ;   in Loop: Header=BB0_2 Depth=1
	v_cvt_f32_u32_e32 v1, s24
	v_cvt_f32_u32_e32 v5, s25
	s_sub_u32 s2, 0, s24
	s_subb_u32 s3, 0, s25
	v_fmac_f32_e32 v1, 0x4f800000, v5
	v_rcp_f32_e32 v1, v1
	s_nop 0
	v_mul_f32_e32 v1, 0x5f7ffffc, v1
	v_mul_f32_e32 v5, 0x2f800000, v1
	v_trunc_f32_e32 v5, v5
	v_fmac_f32_e32 v1, 0xcf800000, v5
	v_cvt_u32_f32_e32 v5, v5
	v_cvt_u32_f32_e32 v1, v1
	v_mul_lo_u32 v8, s2, v5
	v_mul_hi_u32 v10, s2, v1
	v_mul_lo_u32 v9, s3, v1
	v_add_u32_e32 v10, v10, v8
	v_mul_lo_u32 v12, s2, v1
	v_add_u32_e32 v13, v10, v9
	v_mul_hi_u32 v8, v1, v12
	v_mul_hi_u32 v11, v1, v13
	v_mul_lo_u32 v10, v1, v13
	v_mov_b32_e32 v9, v4
	v_lshl_add_u64 v[8:9], v[8:9], 0, v[10:11]
	v_mul_hi_u32 v11, v5, v12
	v_mul_lo_u32 v12, v5, v12
	v_add_co_u32_e32 v8, vcc, v8, v12
	v_mul_hi_u32 v10, v5, v13
	s_nop 0
	v_addc_co_u32_e32 v8, vcc, v9, v11, vcc
	v_mov_b32_e32 v9, v4
	s_nop 0
	v_addc_co_u32_e32 v11, vcc, 0, v10, vcc
	v_mul_lo_u32 v10, v5, v13
	v_lshl_add_u64 v[8:9], v[8:9], 0, v[10:11]
	v_add_co_u32_e32 v1, vcc, v1, v8
	v_mul_lo_u32 v10, s2, v1
	s_nop 0
	v_addc_co_u32_e32 v5, vcc, v5, v9, vcc
	v_mul_lo_u32 v8, s2, v5
	v_mul_hi_u32 v9, s2, v1
	v_add_u32_e32 v8, v9, v8
	v_mul_lo_u32 v9, s3, v1
	v_add_u32_e32 v12, v8, v9
	v_mul_hi_u32 v14, v5, v10
	v_mul_lo_u32 v15, v5, v10
	v_mul_hi_u32 v9, v1, v12
	v_mul_lo_u32 v8, v1, v12
	v_mul_hi_u32 v10, v1, v10
	v_mov_b32_e32 v11, v4
	v_lshl_add_u64 v[8:9], v[10:11], 0, v[8:9]
	v_add_co_u32_e32 v8, vcc, v8, v15
	v_mul_hi_u32 v13, v5, v12
	s_nop 0
	v_addc_co_u32_e32 v8, vcc, v9, v14, vcc
	v_mul_lo_u32 v10, v5, v12
	s_nop 0
	v_addc_co_u32_e32 v11, vcc, 0, v13, vcc
	v_mov_b32_e32 v9, v4
	v_lshl_add_u64 v[8:9], v[8:9], 0, v[10:11]
	v_add_co_u32_e32 v1, vcc, v1, v8
	v_mul_hi_u32 v10, v6, v1
	s_nop 0
	v_addc_co_u32_e32 v5, vcc, v5, v9, vcc
	v_mad_u64_u32 v[8:9], s[2:3], v6, v5, 0
	v_mov_b32_e32 v11, v4
	v_lshl_add_u64 v[8:9], v[10:11], 0, v[8:9]
	v_mad_u64_u32 v[12:13], s[2:3], v7, v1, 0
	v_add_co_u32_e32 v1, vcc, v8, v12
	v_mad_u64_u32 v[10:11], s[2:3], v7, v5, 0
	s_nop 0
	v_addc_co_u32_e32 v8, vcc, v9, v13, vcc
	v_mov_b32_e32 v9, v4
	s_nop 0
	v_addc_co_u32_e32 v11, vcc, 0, v11, vcc
	v_lshl_add_u64 v[8:9], v[8:9], 0, v[10:11]
	v_mul_lo_u32 v1, s25, v8
	v_mul_lo_u32 v5, s24, v9
	v_mad_u64_u32 v[10:11], s[2:3], s24, v8, 0
	v_add3_u32 v1, v11, v5, v1
	v_sub_u32_e32 v5, v7, v1
	v_mov_b32_e32 v11, s25
	v_sub_co_u32_e32 v14, vcc, v6, v10
	v_lshl_add_u64 v[12:13], v[8:9], 0, 1
	s_nop 0
	v_subb_co_u32_e64 v5, s[2:3], v5, v11, vcc
	v_subrev_co_u32_e64 v10, s[2:3], s24, v14
	v_subb_co_u32_e32 v1, vcc, v7, v1, vcc
	s_nop 0
	v_subbrev_co_u32_e64 v5, s[2:3], 0, v5, s[2:3]
	v_cmp_le_u32_e64 s[2:3], s25, v5
	v_cmp_le_u32_e32 vcc, s25, v1
	s_nop 0
	v_cndmask_b32_e64 v11, 0, -1, s[2:3]
	v_cmp_le_u32_e64 s[2:3], s24, v10
	s_nop 1
	v_cndmask_b32_e64 v10, 0, -1, s[2:3]
	v_cmp_eq_u32_e64 s[2:3], s25, v5
	s_nop 1
	v_cndmask_b32_e64 v5, v11, v10, s[2:3]
	v_lshl_add_u64 v[10:11], v[8:9], 0, 2
	v_cmp_ne_u32_e64 s[2:3], 0, v5
	s_nop 1
	v_cndmask_b32_e64 v5, v13, v11, s[2:3]
	v_cndmask_b32_e64 v11, 0, -1, vcc
	v_cmp_le_u32_e32 vcc, s24, v14
	s_nop 1
	v_cndmask_b32_e64 v13, 0, -1, vcc
	v_cmp_eq_u32_e32 vcc, s25, v1
	s_nop 1
	v_cndmask_b32_e32 v1, v11, v13, vcc
	v_cmp_ne_u32_e32 vcc, 0, v1
	v_cndmask_b32_e64 v1, v12, v10, s[2:3]
	s_nop 0
	v_cndmask_b32_e32 v71, v9, v5, vcc
	v_cndmask_b32_e32 v70, v8, v1, vcc
.LBB0_4:                                ;   in Loop: Header=BB0_2 Depth=1
	s_andn2_saveexec_b64 s[2:3], s[26:27]
	s_cbranch_execz .LBB0_6
; %bb.5:                                ;   in Loop: Header=BB0_2 Depth=1
	v_cvt_f32_u32_e32 v1, s24
	s_sub_i32 s26, 0, s24
	v_mov_b32_e32 v71, v4
	v_rcp_iflag_f32_e32 v1, v1
	s_nop 0
	v_mul_f32_e32 v1, 0x4f7ffffe, v1
	v_cvt_u32_f32_e32 v1, v1
	v_mul_lo_u32 v5, s26, v1
	v_mul_hi_u32 v5, v1, v5
	v_add_u32_e32 v1, v1, v5
	v_mul_hi_u32 v1, v6, v1
	v_mul_lo_u32 v5, v1, s24
	v_sub_u32_e32 v5, v6, v5
	v_add_u32_e32 v8, 1, v1
	v_subrev_u32_e32 v9, s24, v5
	v_cmp_le_u32_e32 vcc, s24, v5
	s_nop 1
	v_cndmask_b32_e32 v5, v5, v9, vcc
	v_cndmask_b32_e32 v1, v1, v8, vcc
	v_add_u32_e32 v8, 1, v1
	v_cmp_le_u32_e32 vcc, s24, v5
	s_nop 1
	v_cndmask_b32_e32 v70, v1, v8, vcc
.LBB0_6:                                ;   in Loop: Header=BB0_2 Depth=1
	s_or_b64 exec, exec, s[2:3]
	v_mad_u64_u32 v[8:9], s[2:3], v70, s24, 0
	s_load_dwordx2 s[2:3], s[18:19], 0x0
	v_mul_lo_u32 v1, v71, s24
	v_mul_lo_u32 v5, v70, s25
	s_load_dwordx2 s[24:25], s[16:17], 0x0
	s_add_u32 s22, s22, 1
	v_add3_u32 v1, v9, v5, v1
	v_sub_co_u32_e32 v5, vcc, v6, v8
	s_addc_u32 s23, s23, 0
	s_nop 0
	v_subb_co_u32_e32 v1, vcc, v7, v1, vcc
	s_add_u32 s16, s16, 8
	s_waitcnt lgkmcnt(0)
	v_mul_lo_u32 v6, s2, v1
	v_mul_lo_u32 v7, s3, v5
	v_mad_u64_u32 v[2:3], s[2:3], s2, v5, v[2:3]
	s_addc_u32 s17, s17, 0
	v_add3_u32 v3, v7, v3, v6
	v_mul_lo_u32 v1, s24, v1
	v_mul_lo_u32 v6, s25, v5
	v_mad_u64_u32 v[66:67], s[2:3], s24, v5, v[66:67]
	s_add_u32 s18, s18, 8
	v_add3_u32 v67, v6, v67, v1
	s_addc_u32 s19, s19, 0
	v_mov_b64_e32 v[6:7], s[10:11]
	s_add_u32 s20, s20, 8
	v_cmp_ge_u64_e32 vcc, s[22:23], v[6:7]
	s_addc_u32 s21, s21, 0
	s_cbranch_vccnz .LBB0_9
; %bb.7:                                ;   in Loop: Header=BB0_2 Depth=1
	v_mov_b64_e32 v[6:7], v[70:71]
	s_branch .LBB0_2
.LBB0_8:
	v_mov_b64_e32 v[66:67], v[2:3]
	v_mov_b64_e32 v[70:71], v[6:7]
.LBB0_9:
	s_load_dwordx2 s[0:1], s[0:1], 0x28
	s_mov_b32 s16, 0x2762763
	v_mul_hi_u32 v1, v0, s16
	v_mul_u32_u24_e32 v1, 0x68, v1
	s_lshl_b64 s[2:3], s[10:11], 3
	v_sub_u32_e32 v68, v0, v1
	s_add_u32 s10, s14, s2
	s_waitcnt lgkmcnt(0)
	v_cmp_gt_u64_e32 vcc, s[0:1], v[70:71]
	v_cmp_gt_u32_e64 s[0:1], 56, v68
	s_addc_u32 s11, s15, s3
	s_and_b64 s[16:17], vcc, s[0:1]
                                        ; implicit-def: $vgpr12_vgpr13
                                        ; implicit-def: $vgpr16_vgpr17
                                        ; implicit-def: $vgpr24_vgpr25
                                        ; implicit-def: $vgpr28_vgpr29
                                        ; implicit-def: $vgpr60_vgpr61
                                        ; implicit-def: $vgpr54_vgpr55
                                        ; implicit-def: $vgpr50_vgpr51
                                        ; implicit-def: $vgpr44_vgpr45
                                        ; implicit-def: $vgpr40_vgpr41
                                        ; implicit-def: $vgpr36_vgpr37
                                        ; implicit-def: $vgpr32_vgpr33
                                        ; implicit-def: $vgpr20_vgpr21
                                        ; implicit-def: $vgpr8_vgpr9
	s_and_saveexec_b64 s[14:15], s[16:17]
	s_cbranch_execz .LBB0_11
; %bb.10:
	s_add_u32 s2, s12, s2
	s_addc_u32 s3, s13, s3
	s_load_dwordx2 s[2:3], s[2:3], 0x0
	v_mov_b32_e32 v69, 0
	v_or_b32_e32 v38, 0x1c0, v68
	v_mov_b32_e32 v39, v69
	s_waitcnt lgkmcnt(0)
	v_mul_lo_u32 v4, s3, v70
	v_mul_lo_u32 v5, s2, v71
	v_mad_u64_u32 v[0:1], s[2:3], s2, v70, 0
	v_add3_u32 v1, v1, v5, v4
	v_lshl_add_u64 v[0:1], v[0:1], 4, s[4:5]
	v_lshl_add_u64 v[0:1], v[2:3], 4, v[0:1]
	;; [unrolled: 1-line block ×3, first 2 shown]
	s_movk_i32 s2, 0x1000
	v_add_co_u32_e64 v4, s[2:3], s2, v2
	v_lshl_add_u64 v[0:1], v[38:39], 4, v[0:1]
	s_nop 0
	v_addc_co_u32_e64 v5, s[2:3], 0, v3, s[2:3]
	s_movk_i32 s2, 0x2000
	global_load_dwordx4 v[6:9], v[2:3], off
	global_load_dwordx4 v[10:13], v[2:3], off offset:896
	global_load_dwordx4 v[18:21], v[2:3], off offset:1792
	;; [unrolled: 1-line block ×7, first 2 shown]
	global_load_dwordx4 v[38:41], v[0:1], off
	global_load_dwordx4 v[42:45], v[4:5], off offset:3968
	v_add_co_u32_e64 v0, s[2:3], s2, v2
	s_nop 1
	v_addc_co_u32_e64 v1, s[2:3], 0, v3, s[2:3]
	global_load_dwordx4 v[48:51], v[0:1], off offset:768
	global_load_dwordx4 v[52:55], v[0:1], off offset:1664
	global_load_dwordx4 v[58:61], v[0:1], off offset:2560
.LBB0_11:
	s_or_b64 exec, exec, s[14:15]
	s_mov_b32 s2, 0x93053d00
	s_waitcnt vmcnt(0)
	v_add_f64 v[0:1], v[10:11], v[58:59]
	s_mov_b32 s3, 0xbfef11f4
	s_mov_b32 s16, 0x4bc48dbf
	;; [unrolled: 1-line block ×3, first 2 shown]
	v_add_f64 v[4:5], v[12:13], -v[60:61]
	v_mul_f64 v[84:85], v[0:1], s[2:3]
	s_mov_b32 s17, 0xbfcea1e5
	s_mov_b32 s5, 0x3fec55a7
	;; [unrolled: 1-line block ×3, first 2 shown]
	v_add_f64 v[46:47], v[52:53], v[18:19]
	v_fma_f64 v[2:3], s[16:17], v[4:5], v[84:85]
	s_mov_b32 s19, 0x3fddbe06
	v_add_f64 v[56:57], v[20:21], -v[54:55]
	v_mul_f64 v[86:87], v[46:47], s[4:5]
	v_add_f64 v[2:3], v[2:3], v[6:7]
	v_fma_f64 v[62:63], s[18:19], v[56:57], v[86:87]
	s_mov_b32 s12, 0xd0032e0c
	v_add_f64 v[2:3], v[62:63], v[2:3]
	s_mov_b32 s13, 0xbfe7f3cc
	s_mov_b32 s22, 0x24c2f84
	v_add_f64 v[62:63], v[14:15], v[48:49]
	s_mov_b32 s23, 0xbfe5384d
	v_add_f64 v[64:65], v[16:17], -v[50:51]
	v_mul_f64 v[88:89], v[62:63], s[12:13]
	v_fma_f64 v[72:73], s[22:23], v[64:65], v[88:89]
	s_mov_b32 s14, 0x1ea71119
	v_add_f64 v[2:3], v[72:73], v[2:3]
	s_mov_b32 s15, 0x3fe22d96
	s_mov_b32 s26, 0x42a4c3d2
	v_add_f64 v[72:73], v[22:23], v[42:43]
	s_mov_b32 s27, 0x3fea55e2
	v_add_f64 v[76:77], v[24:25], -v[44:45]
	v_mul_f64 v[90:91], v[72:73], s[14:15]
	;; [unrolled: 9-line block ×4, first 2 shown]
	v_fma_f64 v[96:97], s[30:31], v[82:83], v[94:95]
	v_add_f64 v[2:3], v[96:97], v[2:3]
	s_and_saveexec_b64 s[34:35], s[0:1]
	s_cbranch_execz .LBB0_13
; %bb.12:
	v_mul_f64 v[96:97], v[4:5], s[16:17]
	v_mul_f64 v[98:99], v[56:57], s[18:19]
	v_add_f64 v[84:85], v[84:85], -v[96:97]
	v_mul_f64 v[100:101], v[64:65], s[22:23]
	v_add_f64 v[86:87], v[86:87], -v[98:99]
	v_add_f64 v[84:85], v[84:85], v[6:7]
	v_mul_f64 v[102:103], v[76:77], s[26:27]
	v_mul_f64 v[106:107], v[82:83], s[30:31]
	v_add_f64 v[88:89], v[88:89], -v[100:101]
	v_add_f64 v[84:85], v[86:87], v[84:85]
	v_mul_f64 v[104:105], v[80:81], s[28:29]
	v_add_f64 v[94:95], v[94:95], -v[106:107]
	v_add_f64 v[90:91], v[90:91], -v[102:103]
	v_add_f64 v[84:85], v[88:89], v[84:85]
	v_mul_f64 v[106:107], v[4:5], s[22:23]
	v_add_f64 v[92:93], v[92:93], -v[104:105]
	v_add_f64 v[84:85], v[90:91], v[84:85]
	s_mov_b32 s37, 0xbfea55e2
	s_mov_b32 s36, s26
	v_mul_f64 v[102:103], v[56:57], s[30:31]
	v_fma_f64 v[108:109], s[12:13], v[0:1], v[106:107]
	v_add_f64 v[84:85], v[92:93], v[84:85]
	s_mov_b32 s39, 0x3fcea1e5
	s_mov_b32 s38, s16
	v_mul_f64 v[98:99], v[64:65], s[36:37]
	v_fma_f64 v[104:105], s[24:25], v[46:47], v[102:103]
	v_add_f64 v[108:109], v[108:109], v[6:7]
	v_add_f64 v[84:85], v[94:95], v[84:85]
	v_mul_f64 v[94:95], v[76:77], s[38:39]
	v_fma_f64 v[100:101], s[14:15], v[62:63], v[98:99]
	v_add_f64 v[104:105], v[104:105], v[108:109]
	v_mul_f64 v[90:91], v[80:81], s[18:19]
	v_fma_f64 v[96:97], s[2:3], v[72:73], v[94:95]
	;; [unrolled: 3-line block ×3, first 2 shown]
	v_add_f64 v[96:97], v[96:97], v[100:101]
	v_fma_f64 v[88:89], s[20:21], v[78:79], v[86:87]
	v_add_f64 v[92:93], v[92:93], v[96:97]
	v_add_f64 v[88:89], v[88:89], v[92:93]
	v_fma_f64 v[92:93], v[72:73], s[2:3], -v[94:95]
	v_fma_f64 v[94:95], v[62:63], s[14:15], -v[98:99]
	;; [unrolled: 1-line block ×4, first 2 shown]
	v_add_f64 v[98:99], v[98:99], v[6:7]
	v_add_f64 v[96:97], v[96:97], v[98:99]
	s_mov_b32 s41, 0x3fe5384d
	s_mov_b32 s40, s22
	v_mul_f64 v[110:111], v[4:5], s[28:29]
	v_add_f64 v[94:95], v[94:95], v[96:97]
	v_mul_f64 v[106:107], v[56:57], s[40:41]
	v_fma_f64 v[112:113], s[20:21], v[0:1], v[110:111]
	v_add_f64 v[92:93], v[92:93], v[94:95]
	v_mul_f64 v[94:95], v[80:81], s[38:39]
	s_mov_b32 s39, 0xbfefc445
	s_mov_b32 s38, s30
	v_mul_f64 v[102:103], v[64:65], s[18:19]
	v_fma_f64 v[108:109], s[12:13], v[46:47], v[106:107]
	v_add_f64 v[112:113], v[112:113], v[6:7]
	v_fma_f64 v[90:91], v[74:75], s[4:5], -v[90:91]
	v_mul_f64 v[98:99], v[76:77], s[38:39]
	v_fma_f64 v[104:105], s[4:5], v[62:63], v[102:103]
	v_add_f64 v[108:109], v[108:109], v[112:113]
	v_fma_f64 v[86:87], v[78:79], s[20:21], -v[86:87]
	v_add_f64 v[90:91], v[90:91], v[92:93]
	v_fma_f64 v[100:101], s[24:25], v[72:73], v[98:99]
	v_add_f64 v[104:105], v[104:105], v[108:109]
	v_add_f64 v[86:87], v[86:87], v[90:91]
	v_mul_f64 v[90:91], v[82:83], s[26:27]
	v_fma_f64 v[96:97], s[2:3], v[74:75], v[94:95]
	v_add_f64 v[100:101], v[100:101], v[104:105]
	v_fma_f64 v[92:93], s[14:15], v[78:79], v[90:91]
	v_add_f64 v[96:97], v[96:97], v[100:101]
	v_add_f64 v[92:93], v[92:93], v[96:97]
	v_fma_f64 v[96:97], v[72:73], s[24:25], -v[98:99]
	v_fma_f64 v[98:99], v[62:63], s[4:5], -v[102:103]
	;; [unrolled: 1-line block ×4, first 2 shown]
	v_add_f64 v[102:103], v[102:103], v[6:7]
	v_mul_f64 v[114:115], v[4:5], s[38:39]
	v_add_f64 v[100:101], v[100:101], v[102:103]
	s_mov_b32 s43, 0x3fedeba7
	s_mov_b32 s42, s28
	v_mul_f64 v[110:111], v[56:57], s[16:17]
	v_fma_f64 v[116:117], s[24:25], v[0:1], v[114:115]
	v_add_f64 v[98:99], v[98:99], v[100:101]
	v_mul_f64 v[106:107], v[64:65], s[42:43]
	v_fma_f64 v[112:113], s[2:3], v[46:47], v[110:111]
	v_add_f64 v[116:117], v[116:117], v[6:7]
	v_fma_f64 v[94:95], v[74:75], s[2:3], -v[94:95]
	v_add_f64 v[96:97], v[96:97], v[98:99]
	v_mul_f64 v[102:103], v[76:77], s[18:19]
	v_fma_f64 v[108:109], s[20:21], v[62:63], v[106:107]
	v_add_f64 v[112:113], v[112:113], v[116:117]
	v_fma_f64 v[90:91], v[78:79], s[14:15], -v[90:91]
	v_add_f64 v[94:95], v[94:95], v[96:97]
	v_mul_f64 v[98:99], v[80:81], s[36:37]
	v_fma_f64 v[104:105], s[4:5], v[72:73], v[102:103]
	v_add_f64 v[108:109], v[108:109], v[112:113]
	v_add_f64 v[90:91], v[90:91], v[94:95]
	v_mul_f64 v[94:95], v[82:83], s[22:23]
	v_fma_f64 v[100:101], s[14:15], v[74:75], v[98:99]
	v_add_f64 v[104:105], v[104:105], v[108:109]
	v_fma_f64 v[96:97], s[12:13], v[78:79], v[94:95]
	v_add_f64 v[100:101], v[100:101], v[104:105]
	v_add_f64 v[96:97], v[96:97], v[100:101]
	v_fma_f64 v[100:101], v[72:73], s[4:5], -v[102:103]
	v_fma_f64 v[102:103], v[62:63], s[20:21], -v[106:107]
	;; [unrolled: 1-line block ×4, first 2 shown]
	v_add_f64 v[106:107], v[106:107], v[6:7]
	v_mul_f64 v[118:119], v[4:5], s[36:37]
	v_add_f64 v[104:105], v[104:105], v[106:107]
	v_mul_f64 v[114:115], v[56:57], s[28:29]
	v_fma_f64 v[120:121], s[14:15], v[0:1], v[118:119]
	v_add_f64 v[102:103], v[102:103], v[104:105]
	v_mul_f64 v[110:111], v[64:65], s[16:17]
	v_fma_f64 v[116:117], s[20:21], v[46:47], v[114:115]
	v_add_f64 v[120:121], v[120:121], v[6:7]
	v_fma_f64 v[98:99], v[74:75], s[14:15], -v[98:99]
	v_add_f64 v[100:101], v[100:101], v[102:103]
	v_mul_f64 v[106:107], v[76:77], s[40:41]
	v_fma_f64 v[112:113], s[2:3], v[62:63], v[110:111]
	v_add_f64 v[116:117], v[116:117], v[120:121]
	v_fma_f64 v[94:95], v[78:79], s[12:13], -v[94:95]
	v_add_f64 v[98:99], v[98:99], v[100:101]
	v_mul_f64 v[102:103], v[80:81], s[30:31]
	v_fma_f64 v[108:109], s[12:13], v[72:73], v[106:107]
	v_add_f64 v[112:113], v[112:113], v[116:117]
	v_add_f64 v[94:95], v[94:95], v[98:99]
	v_mul_f64 v[98:99], v[82:83], s[18:19]
	v_fma_f64 v[104:105], s[24:25], v[74:75], v[102:103]
	v_add_f64 v[108:109], v[108:109], v[112:113]
	v_mul_f64 v[56:57], v[56:57], s[36:37]
	s_mov_b32 s37, 0xbfddbe06
	s_mov_b32 s36, s18
	v_fma_f64 v[100:101], s[4:5], v[78:79], v[98:99]
	v_add_f64 v[104:105], v[104:105], v[108:109]
	v_mul_f64 v[4:5], v[4:5], s[36:37]
	v_add_f64 v[100:101], v[100:101], v[104:105]
	v_fma_f64 v[104:105], v[72:73], s[12:13], -v[106:107]
	v_fma_f64 v[106:107], v[62:63], s[2:3], -v[110:111]
	;; [unrolled: 1-line block ×3, first 2 shown]
	v_fma_f64 v[112:113], s[4:5], v[0:1], v[4:5]
	v_fma_f64 v[0:1], v[0:1], s[4:5], -v[4:5]
	v_add_f64 v[4:5], v[10:11], v[6:7]
	v_add_f64 v[4:5], v[18:19], v[4:5]
	;; [unrolled: 1-line block ×5, first 2 shown]
	v_fma_f64 v[108:109], v[46:47], s[20:21], -v[114:115]
	v_add_f64 v[110:111], v[110:111], v[6:7]
	v_add_f64 v[4:5], v[26:27], v[4:5]
	;; [unrolled: 1-line block ×3, first 2 shown]
	v_mul_f64 v[64:65], v[64:65], s[38:39]
	v_fma_f64 v[110:111], s[14:15], v[46:47], v[56:57]
	v_fma_f64 v[46:47], v[46:47], s[14:15], -v[56:57]
	v_add_f64 v[0:1], v[0:1], v[6:7]
	v_add_f64 v[4:5], v[34:35], v[4:5]
	;; [unrolled: 1-line block ×3, first 2 shown]
	v_mul_f64 v[76:77], v[76:77], s[28:29]
	v_fma_f64 v[108:109], s[24:25], v[62:63], v[64:65]
	v_add_f64 v[112:113], v[112:113], v[6:7]
	v_fma_f64 v[62:63], v[62:63], s[24:25], -v[64:65]
	v_add_f64 v[0:1], v[46:47], v[0:1]
	v_add_f64 v[4:5], v[38:39], v[4:5]
	v_fma_f64 v[102:103], v[74:75], s[24:25], -v[102:103]
	v_add_f64 v[104:105], v[104:105], v[106:107]
	v_mul_f64 v[80:81], v[80:81], s[22:23]
	v_fma_f64 v[106:107], s[20:21], v[72:73], v[76:77]
	v_add_f64 v[110:111], v[110:111], v[112:113]
	v_fma_f64 v[72:73], v[72:73], s[20:21], -v[76:77]
	v_add_f64 v[0:1], v[62:63], v[0:1]
	v_add_f64 v[4:5], v[42:43], v[4:5]
	v_fma_f64 v[98:99], v[78:79], s[4:5], -v[98:99]
	v_add_f64 v[102:103], v[102:103], v[104:105]
	v_mul_f64 v[82:83], v[82:83], s[16:17]
	v_fma_f64 v[104:105], s[12:13], v[74:75], v[80:81]
	v_add_f64 v[108:109], v[108:109], v[110:111]
	v_fma_f64 v[74:75], v[74:75], s[12:13], -v[80:81]
	v_add_f64 v[0:1], v[72:73], v[0:1]
	v_add_f64 v[4:5], v[48:49], v[4:5]
	;; [unrolled: 1-line block ×3, first 2 shown]
	v_fma_f64 v[102:103], s[2:3], v[78:79], v[82:83]
	v_add_f64 v[106:107], v[106:107], v[108:109]
	v_fma_f64 v[78:79], v[78:79], s[2:3], -v[82:83]
	v_add_f64 v[0:1], v[74:75], v[0:1]
	v_add_f64 v[4:5], v[52:53], v[4:5]
	s_movk_i32 s33, 0x68
	v_add_f64 v[104:105], v[104:105], v[106:107]
	v_add_f64 v[0:1], v[78:79], v[0:1]
	;; [unrolled: 1-line block ×3, first 2 shown]
	v_mad_u32_u24 v6, v68, s33, 0
	v_add_f64 v[102:103], v[102:103], v[104:105]
	ds_write2_b64 v6, v[4:5], v[0:1] offset1:1
	ds_write2_b64 v6, v[98:99], v[94:95] offset0:2 offset1:3
	ds_write2_b64 v6, v[90:91], v[86:87] offset0:4 offset1:5
	;; [unrolled: 1-line block ×5, first 2 shown]
	ds_write_b64 v6, v[102:103] offset:96
.LBB0_13:
	s_or_b64 exec, exec, s[34:35]
	v_add_f64 v[90:91], v[10:11], -v[58:59]
	v_add_f64 v[86:87], v[12:13], v[60:61]
	v_mul_f64 v[88:89], v[90:91], s[16:17]
	v_add_f64 v[84:85], v[18:19], -v[52:53]
	v_fma_f64 v[0:1], v[86:87], s[2:3], -v[88:89]
	v_add_f64 v[80:81], v[54:55], v[20:21]
	v_mul_f64 v[82:83], v[84:85], s[18:19]
	v_add_f64 v[78:79], v[14:15], -v[48:49]
	v_add_f64 v[0:1], v[0:1], v[8:9]
	v_fma_f64 v[4:5], v[80:81], s[4:5], -v[82:83]
	v_add_f64 v[74:75], v[16:17], v[50:51]
	v_mul_f64 v[76:77], v[78:79], s[22:23]
	v_add_f64 v[72:73], v[22:23], -v[42:43]
	v_add_f64 v[0:1], v[0:1], v[4:5]
	;; [unrolled: 5-line block ×3, first 2 shown]
	v_fma_f64 v[4:5], v[52:53], s[14:15], -v[42:43]
	v_add_f64 v[22:23], v[40:41], v[32:33]
	v_mul_f64 v[30:31], v[38:39], s[28:29]
	v_lshl_add_u32 v69, v68, 3, 0
	v_add_f64 v[0:1], v[4:5], v[0:1]
	v_fma_f64 v[4:5], v[22:23], s[20:21], -v[30:31]
	v_add_f64 v[14:15], v[26:27], -v[34:35]
	v_add_u32_e32 v26, 0x400, v69
	v_add_u32_e32 v27, 0xc00, v69
	v_add_f64 v[6:7], v[4:5], v[0:1]
	s_waitcnt lgkmcnt(0)
	s_barrier
	ds_read2_b64 v[46:49], v69 offset1:104
	ds_read2_b64 v[62:65], v26 offset0:80 offset1:184
	ds_read2_b64 v[56:59], v27 offset0:32 offset1:136
	ds_read_b64 v[0:1], v69 offset:4992
	v_add_f64 v[10:11], v[28:29], v[36:37]
	v_mul_f64 v[4:5], v[14:15], s[30:31]
	v_fma_f64 v[18:19], v[10:11], s[24:25], -v[4:5]
	v_add_f64 v[6:7], v[18:19], v[6:7]
	s_waitcnt lgkmcnt(0)
	s_barrier
	s_and_saveexec_b64 s[16:17], s[0:1]
	s_cbranch_execz .LBB0_15
; %bb.14:
	v_add_f64 v[12:13], v[12:13], v[8:9]
	v_add_f64 v[12:13], v[20:21], v[12:13]
	;; [unrolled: 1-line block ×7, first 2 shown]
	v_mul_f64 v[96:97], v[52:53], s[14:15]
	v_mul_f64 v[98:99], v[22:23], s[20:21]
	v_add_f64 v[12:13], v[40:41], v[12:13]
	s_mov_b32 s26, 0x66966769
	s_mov_b32 s14, 0x2ef20147
	;; [unrolled: 1-line block ×3, first 2 shown]
	v_mul_f64 v[34:35], v[86:87], s[2:3]
	v_mul_f64 v[94:95], v[74:75], s[12:13]
	v_add_f64 v[12:13], v[44:45], v[12:13]
	s_mov_b32 s13, 0xbfddbe06
	s_mov_b32 s12, 0x4267c47c
	;; [unrolled: 1-line block ×10, first 2 shown]
	v_add_f64 v[12:13], v[50:51], v[12:13]
	v_mul_f64 v[16:17], v[90:91], s[12:13]
	v_mul_f64 v[24:25], v[90:91], s[2:3]
	s_mov_b32 s1, 0x3fe22d96
	v_mul_f64 v[32:33], v[90:91], s[26:27]
	v_mul_f64 v[40:41], v[90:91], s[14:15]
	s_mov_b32 s19, 0xbfd6b1d8
	v_mul_f64 v[50:51], v[90:91], s[20:21]
	s_mov_b32 s23, 0xbfe7f3cc
	v_add_f64 v[12:13], v[54:55], v[12:13]
	v_fma_f64 v[20:21], s[4:5], v[86:87], v[16:17]
	v_fma_f64 v[16:17], v[86:87], s[4:5], -v[16:17]
	v_fma_f64 v[28:29], s[0:1], v[86:87], v[24:25]
	v_fma_f64 v[24:25], v[86:87], s[0:1], -v[24:25]
	;; [unrolled: 2-line block ×5, first 2 shown]
	v_add_f64 v[34:35], v[34:35], v[88:89]
	v_add_f64 v[20:21], v[20:21], v[8:9]
	;; [unrolled: 1-line block ×12, first 2 shown]
	v_mul_f64 v[34:35], v[84:85], s[2:3]
	v_add_f64 v[12:13], v[60:61], v[12:13]
	v_fma_f64 v[60:61], s[0:1], v[80:81], v[34:35]
	v_fma_f64 v[34:35], v[80:81], s[0:1], -v[34:35]
	v_add_f64 v[16:17], v[16:17], v[34:35]
	v_mul_f64 v[34:35], v[84:85], s[14:15]
	s_mov_b32 s28, 0x4bc48dbf
	v_add_f64 v[20:21], v[20:21], v[60:61]
	v_fma_f64 v[60:61], s[18:19], v[80:81], v[34:35]
	v_fma_f64 v[34:35], v[80:81], s[18:19], -v[34:35]
	s_mov_b32 s29, 0xbfcea1e5
	s_mov_b32 s30, 0x93053d00
	v_add_f64 v[24:25], v[24:25], v[34:35]
	v_mul_f64 v[34:35], v[84:85], s[28:29]
	s_mov_b32 s31, 0xbfef11f4
	v_add_f64 v[28:29], v[28:29], v[60:61]
	v_fma_f64 v[60:61], s[30:31], v[80:81], v[34:35]
	v_fma_f64 v[34:35], v[80:81], s[30:31], -v[34:35]
	s_mov_b32 s35, 0x3fe5384d
	s_mov_b32 s34, s20
	v_add_f64 v[32:33], v[32:33], v[34:35]
	v_mul_f64 v[34:35], v[84:85], s[34:35]
	v_add_f64 v[36:37], v[36:37], v[60:61]
	v_fma_f64 v[60:61], s[22:23], v[80:81], v[34:35]
	v_fma_f64 v[34:35], v[80:81], s[22:23], -v[34:35]
	s_mov_b32 s37, 0x3fefc445
	s_mov_b32 s36, s26
	v_add_f64 v[34:35], v[40:41], v[34:35]
	v_mul_f64 v[40:41], v[84:85], s[36:37]
	v_mul_f64 v[92:93], v[80:81], s[4:5]
	v_add_f64 v[44:45], v[44:45], v[60:61]
	v_fma_f64 v[60:61], s[24:25], v[80:81], v[40:41]
	v_fma_f64 v[40:41], v[80:81], s[24:25], -v[40:41]
	v_add_f64 v[40:41], v[50:51], v[40:41]
	v_add_f64 v[50:51], v[92:93], v[82:83]
	;; [unrolled: 1-line block ×3, first 2 shown]
	v_mul_f64 v[50:51], v[78:79], s[26:27]
	v_add_f64 v[54:55], v[54:55], v[60:61]
	v_fma_f64 v[60:61], s[24:25], v[74:75], v[50:51]
	v_fma_f64 v[50:51], v[74:75], s[24:25], -v[50:51]
	v_add_f64 v[16:17], v[50:51], v[16:17]
	v_mul_f64 v[50:51], v[78:79], s[28:29]
	v_add_f64 v[20:21], v[60:61], v[20:21]
	v_fma_f64 v[60:61], s[30:31], v[74:75], v[50:51]
	v_fma_f64 v[50:51], v[74:75], s[30:31], -v[50:51]
	s_mov_b32 s39, 0x3fedeba7
	s_mov_b32 s38, s14
	v_add_f64 v[24:25], v[50:51], v[24:25]
	v_mul_f64 v[50:51], v[78:79], s[38:39]
	v_add_f64 v[28:29], v[60:61], v[28:29]
	v_fma_f64 v[60:61], s[18:19], v[74:75], v[50:51]
	v_fma_f64 v[50:51], v[74:75], s[18:19], -v[50:51]
	s_mov_b32 s13, 0x3fddbe06
	v_add_f64 v[32:33], v[50:51], v[32:33]
	v_mul_f64 v[50:51], v[78:79], s[12:13]
	v_add_f64 v[36:37], v[60:61], v[36:37]
	v_fma_f64 v[60:61], s[4:5], v[74:75], v[50:51]
	v_fma_f64 v[50:51], v[74:75], s[4:5], -v[50:51]
	v_add_f64 v[34:35], v[50:51], v[34:35]
	v_mul_f64 v[50:51], v[78:79], s[2:3]
	v_add_f64 v[44:45], v[60:61], v[44:45]
	v_fma_f64 v[60:61], s[0:1], v[74:75], v[50:51]
	v_fma_f64 v[50:51], v[74:75], s[0:1], -v[50:51]
	v_add_f64 v[40:41], v[50:51], v[40:41]
	v_add_f64 v[50:51], v[94:95], v[76:77]
	;; [unrolled: 1-line block ×3, first 2 shown]
	v_mul_f64 v[50:51], v[72:73], s[14:15]
	v_add_f64 v[54:55], v[60:61], v[54:55]
	v_fma_f64 v[60:61], s[18:19], v[52:53], v[50:51]
	v_fma_f64 v[50:51], v[52:53], s[18:19], -v[50:51]
	v_add_f64 v[16:17], v[50:51], v[16:17]
	v_mul_f64 v[50:51], v[72:73], s[34:35]
	v_add_f64 v[20:21], v[60:61], v[20:21]
	v_fma_f64 v[60:61], s[22:23], v[52:53], v[50:51]
	v_fma_f64 v[50:51], v[52:53], s[22:23], -v[50:51]
	v_add_f64 v[24:25], v[50:51], v[24:25]
	;; [unrolled: 5-line block ×3, first 2 shown]
	v_mul_f64 v[50:51], v[72:73], s[26:27]
	v_add_f64 v[36:37], v[60:61], v[36:37]
	v_fma_f64 v[60:61], s[24:25], v[52:53], v[50:51]
	v_fma_f64 v[50:51], v[52:53], s[24:25], -v[50:51]
	s_mov_b32 s27, 0x3fcea1e5
	s_mov_b32 s26, s28
	v_add_f64 v[34:35], v[50:51], v[34:35]
	v_mul_f64 v[50:51], v[72:73], s[26:27]
	v_add_f64 v[42:43], v[96:97], v[42:43]
	v_add_f64 v[44:45], v[60:61], v[44:45]
	v_fma_f64 v[60:61], s[30:31], v[52:53], v[50:51]
	v_fma_f64 v[50:51], v[52:53], s[30:31], -v[50:51]
	v_add_f64 v[8:9], v[42:43], v[8:9]
	v_mul_f64 v[42:43], v[38:39], s[20:21]
	v_add_f64 v[40:41], v[50:51], v[40:41]
	v_fma_f64 v[50:51], s[22:23], v[22:23], v[42:43]
	v_fma_f64 v[42:43], v[22:23], s[22:23], -v[42:43]
	v_add_f64 v[16:17], v[42:43], v[16:17]
	v_mul_f64 v[42:43], v[38:39], s[36:37]
	;; [unrolled: 5-line block ×4, first 2 shown]
	v_add_f64 v[30:31], v[98:99], v[30:31]
	v_add_f64 v[36:37], v[50:51], v[36:37]
	v_fma_f64 v[50:51], s[30:31], v[22:23], v[42:43]
	v_fma_f64 v[42:43], v[22:23], s[30:31], -v[42:43]
	v_mul_f64 v[38:39], v[38:39], s[12:13]
	v_add_f64 v[8:9], v[30:31], v[8:9]
	v_mul_f64 v[30:31], v[14:15], s[28:29]
	v_add_f64 v[34:35], v[42:43], v[34:35]
	v_fma_f64 v[42:43], s[4:5], v[22:23], v[38:39]
	v_fma_f64 v[22:23], v[22:23], s[4:5], -v[38:39]
	v_fma_f64 v[38:39], s[30:31], v[10:11], v[30:31]
	v_fma_f64 v[30:31], v[10:11], s[30:31], -v[30:31]
	v_add_f64 v[16:17], v[30:31], v[16:17]
	v_mul_f64 v[30:31], v[14:15], s[12:13]
	v_add_f64 v[20:21], v[38:39], v[20:21]
	v_fma_f64 v[38:39], s[4:5], v[10:11], v[30:31]
	v_fma_f64 v[30:31], v[10:11], s[4:5], -v[30:31]
	v_add_f64 v[24:25], v[30:31], v[24:25]
	v_mul_f64 v[30:31], v[14:15], s[20:21]
	v_add_f64 v[28:29], v[38:39], v[28:29]
	v_fma_f64 v[38:39], s[22:23], v[10:11], v[30:31]
	v_fma_f64 v[30:31], v[10:11], s[22:23], -v[30:31]
	s_mov_b32 s3, 0x3fea55e2
	v_mul_f64 v[18:19], v[10:11], s[24:25]
	v_add_f64 v[30:31], v[30:31], v[32:33]
	v_mul_f64 v[32:33], v[14:15], s[2:3]
	v_add_f64 v[54:55], v[60:61], v[54:55]
	v_add_f64 v[36:37], v[38:39], v[36:37]
	v_fma_f64 v[38:39], s[0:1], v[10:11], v[32:33]
	v_fma_f64 v[32:33], v[10:11], s[0:1], -v[32:33]
	v_mul_f64 v[14:15], v[14:15], s[14:15]
	v_add_f64 v[4:5], v[18:19], v[4:5]
	s_movk_i32 s0, 0x60
	v_add_f64 v[44:45], v[50:51], v[44:45]
	v_add_f64 v[42:43], v[42:43], v[54:55]
	;; [unrolled: 1-line block ×4, first 2 shown]
	v_fma_f64 v[34:35], s[18:19], v[10:11], v[14:15]
	v_fma_f64 v[10:11], v[10:11], s[18:19], -v[14:15]
	v_add_f64 v[4:5], v[4:5], v[8:9]
	v_mad_u32_u24 v8, v68, s0, v69
	v_add_f64 v[38:39], v[38:39], v[44:45]
	v_add_f64 v[34:35], v[34:35], v[42:43]
	v_add_f64 v[10:11], v[10:11], v[22:23]
	ds_write2_b64 v8, v[12:13], v[20:21] offset1:1
	ds_write2_b64 v8, v[28:29], v[36:37] offset0:2 offset1:3
	ds_write2_b64 v8, v[38:39], v[34:35] offset0:4 offset1:5
	;; [unrolled: 1-line block ×5, first 2 shown]
	ds_write_b64 v8, v[16:17] offset:96
.LBB0_15:
	s_or_b64 exec, exec, s[16:17]
	s_movk_i32 s0, 0x4f
	v_mul_lo_u16_sdwa v4, v68, s0 dst_sel:DWORD dst_unused:UNUSED_PAD src0_sel:BYTE_0 src1_sel:DWORD
	v_lshrrev_b16_e32 v54, 10, v4
	v_mul_lo_u16_e32 v4, 13, v54
	v_sub_u16_e32 v55, v68, v4
	v_mov_b32_e32 v4, 6
	v_mul_u32_u24_sdwa v4, v55, v4 dst_sel:DWORD dst_unused:UNUSED_PAD src0_sel:BYTE_0 src1_sel:DWORD
	v_lshlrev_b32_e32 v4, 4, v4
	s_load_dwordx2 s[2:3], s[10:11], 0x0
	s_waitcnt lgkmcnt(0)
	s_barrier
	global_load_dwordx4 v[8:11], v4, s[8:9]
	global_load_dwordx4 v[12:15], v4, s[8:9] offset:16
	global_load_dwordx4 v[16:19], v4, s[8:9] offset:32
	;; [unrolled: 1-line block ×5, first 2 shown]
	ds_read2_b64 v[20:23], v69 offset1:104
	ds_read2_b64 v[76:79], v26 offset0:80 offset1:184
	ds_read2_b64 v[80:83], v27 offset0:32 offset1:136
	ds_read_b64 v[44:45], v69 offset:4992
	s_mov_b32 s10, 0x37e14327
	s_mov_b32 s4, 0x36b3c0b5
	;; [unrolled: 1-line block ×20, first 2 shown]
	s_movk_i32 s0, 0x5b
	v_cmp_gt_u32_e64 s[0:1], s0, v68
	s_waitcnt lgkmcnt(0)
	s_barrier
	s_waitcnt vmcnt(5)
	v_mul_f64 v[32:33], v[22:23], v[10:11]
	v_mul_f64 v[4:5], v[48:49], v[10:11]
	s_waitcnt vmcnt(4)
	v_mul_f64 v[10:11], v[76:77], v[14:15]
	v_mul_f64 v[24:25], v[62:63], v[14:15]
	;; [unrolled: 3-line block ×6, first 2 shown]
	v_fma_f64 v[32:33], v[48:49], v[8:9], -v[32:33]
	v_fmac_f64_e32 v[4:5], v[22:23], v[8:9]
	v_fma_f64 v[22:23], v[62:63], v[12:13], -v[10:11]
	v_fma_f64 v[38:39], v[56:57], v[40:41], -v[18:19]
	v_fmac_f64_e32 v[28:29], v[80:81], v[40:41]
	v_fma_f64 v[40:41], v[58:59], v[50:51], -v[42:43]
	;; [unrolled: 3-line block ×3, first 2 shown]
	v_fmac_f64_e32 v[26:27], v[78:79], v[16:17]
	v_fmac_f64_e32 v[30:31], v[82:83], v[50:51]
	;; [unrolled: 1-line block ×3, first 2 shown]
	v_add_f64 v[0:1], v[32:33], v[42:43]
	v_add_f64 v[10:11], v[22:23], v[40:41]
	v_add_f64 v[8:9], v[4:5], -v[36:37]
	v_add_f64 v[12:13], v[24:25], -v[30:31]
	v_add_f64 v[14:15], v[34:35], v[38:39]
	v_add_f64 v[16:17], v[28:29], -v[26:27]
	v_add_f64 v[18:19], v[10:11], v[0:1]
	v_add_f64 v[44:45], v[10:11], -v[0:1]
	v_add_f64 v[0:1], v[0:1], -v[14:15]
	;; [unrolled: 1-line block ×3, first 2 shown]
	v_add_f64 v[48:49], v[16:17], v[12:13]
	v_add_f64 v[50:51], v[16:17], -v[12:13]
	v_add_f64 v[12:13], v[12:13], -v[8:9]
	v_add_f64 v[14:15], v[14:15], v[18:19]
	v_add_f64 v[16:17], v[8:9], -v[16:17]
	v_add_f64 v[18:19], v[48:49], v[8:9]
	v_mul_f64 v[0:1], v[0:1], s[10:11]
	v_mul_f64 v[48:49], v[10:11], s[4:5]
	;; [unrolled: 1-line block ×3, first 2 shown]
	v_add_f64 v[8:9], v[46:47], v[14:15]
	v_mul_f64 v[50:51], v[50:51], s[14:15]
	v_fma_f64 v[46:47], v[44:45], s[18:19], -v[48:49]
	v_fma_f64 v[44:45], v[44:45], s[20:21], -v[0:1]
	v_fmac_f64_e32 v[0:1], s[4:5], v[10:11]
	v_fma_f64 v[52:53], v[16:17], s[24:25], -v[52:53]
	v_fma_f64 v[10:11], s[16:17], v[14:15], v[8:9]
	v_fma_f64 v[48:49], v[12:13], s[12:13], -v[50:51]
	v_fmac_f64_e32 v[50:51], s[22:23], v[16:17]
	v_add_f64 v[44:45], v[44:45], v[10:11]
	v_fmac_f64_e32 v[52:53], s[26:27], v[18:19]
	v_fmac_f64_e32 v[50:51], s[26:27], v[18:19]
	;; [unrolled: 1-line block ×3, first 2 shown]
	v_add_f64 v[12:13], v[52:53], v[44:45]
	v_add_f64 v[18:19], v[44:45], -v[52:53]
	v_mov_b32_e32 v45, 3
	v_add_f64 v[0:1], v[0:1], v[10:11]
	v_add_f64 v[16:17], v[46:47], v[10:11]
	v_mul_u32_u24_e32 v44, 0x2d8, v54
	v_lshlrev_b32_sdwa v45, v45, v55 dst_sel:DWORD dst_unused:UNUSED_PAD src0_sel:DWORD src1_sel:BYTE_0
	v_add_f64 v[10:11], v[50:51], v[0:1]
	v_add_f64 v[14:15], v[16:17], -v[48:49]
	v_add_f64 v[16:17], v[48:49], v[16:17]
	v_add_f64 v[0:1], v[0:1], -v[50:51]
	v_add3_u32 v44, 0, v44, v45
	ds_write2_b64 v44, v[8:9], v[10:11] offset1:13
	ds_write2_b64 v44, v[12:13], v[14:15] offset0:26 offset1:39
	ds_write2_b64 v44, v[16:17], v[18:19] offset0:52 offset1:65
	ds_write_b64 v44, v[0:1] offset:624
	s_waitcnt lgkmcnt(0)
	s_barrier
	s_and_saveexec_b64 s[28:29], s[0:1]
	s_cbranch_execz .LBB0_17
; %bb.16:
	v_add_u32_e32 v0, 0x400, v69
	ds_read2_b64 v[12:15], v0 offset0:54 offset1:145
	v_add_u32_e32 v0, 0x800, v69
	ds_read2_b64 v[16:19], v0 offset0:108 offset1:199
	v_add_u32_e32 v0, 0x1000, v69
	ds_read2_b64 v[8:11], v69 offset1:91
	ds_read2_b64 v[0:3], v0 offset0:34 offset1:125
.LBB0_17:
	s_or_b64 exec, exec, s[28:29]
	v_add_f64 v[4:5], v[4:5], v[36:37]
	v_add_f64 v[24:25], v[24:25], v[30:31]
	v_add_f64 v[32:33], v[32:33], -v[42:43]
	v_add_f64 v[22:23], v[22:23], -v[40:41]
	v_add_f64 v[26:27], v[26:27], v[28:29]
	v_add_f64 v[28:29], v[38:39], -v[34:35]
	v_add_f64 v[30:31], v[24:25], v[4:5]
	v_add_f64 v[34:35], v[24:25], -v[4:5]
	v_add_f64 v[4:5], v[4:5], -v[26:27]
	;; [unrolled: 1-line block ×3, first 2 shown]
	v_add_f64 v[36:37], v[28:29], v[22:23]
	v_add_f64 v[38:39], v[28:29], -v[22:23]
	v_add_f64 v[22:23], v[22:23], -v[32:33]
	v_add_f64 v[26:27], v[26:27], v[30:31]
	v_add_f64 v[28:29], v[32:33], -v[28:29]
	v_add_f64 v[30:31], v[36:37], v[32:33]
	v_add_f64 v[20:21], v[20:21], v[26:27]
	v_mul_f64 v[4:5], v[4:5], s[10:11]
	v_mul_f64 v[32:33], v[24:25], s[4:5]
	;; [unrolled: 1-line block ×4, first 2 shown]
	v_fma_f64 v[26:27], s[16:17], v[26:27], v[20:21]
	v_fma_f64 v[32:33], v[34:35], s[18:19], -v[32:33]
	v_fma_f64 v[34:35], v[34:35], s[20:21], -v[4:5]
	v_fmac_f64_e32 v[4:5], s[4:5], v[24:25]
	v_fma_f64 v[40:41], v[22:23], s[12:13], -v[36:37]
	v_fmac_f64_e32 v[36:37], s[22:23], v[28:29]
	v_fma_f64 v[38:39], v[28:29], s[24:25], -v[38:39]
	v_add_f64 v[4:5], v[4:5], v[26:27]
	v_add_f64 v[28:29], v[32:33], v[26:27]
	;; [unrolled: 1-line block ×3, first 2 shown]
	v_fmac_f64_e32 v[36:37], s[26:27], v[30:31]
	v_fmac_f64_e32 v[40:41], s[26:27], v[30:31]
	;; [unrolled: 1-line block ×3, first 2 shown]
	v_add_f64 v[22:23], v[4:5], -v[36:37]
	v_add_f64 v[24:25], v[32:33], -v[38:39]
	v_add_f64 v[26:27], v[40:41], v[28:29]
	v_add_f64 v[28:29], v[28:29], -v[40:41]
	v_add_f64 v[30:31], v[38:39], v[32:33]
	v_add_f64 v[4:5], v[36:37], v[4:5]
	s_waitcnt lgkmcnt(0)
	s_barrier
	ds_write2_b64 v44, v[20:21], v[22:23] offset1:13
	ds_write2_b64 v44, v[24:25], v[26:27] offset0:26 offset1:39
	ds_write2_b64 v44, v[28:29], v[30:31] offset0:52 offset1:65
	ds_write_b64 v44, v[4:5] offset:624
	s_waitcnt lgkmcnt(0)
	s_barrier
	s_and_saveexec_b64 s[4:5], s[0:1]
	s_cbranch_execnz .LBB0_20
; %bb.18:
	s_or_b64 exec, exec, s[4:5]
	s_and_b64 s[0:1], vcc, s[0:1]
	s_and_saveexec_b64 s[4:5], s[0:1]
	s_cbranch_execnz .LBB0_21
.LBB0_19:
	s_endpgm
.LBB0_20:
	v_add_u32_e32 v4, 0x400, v69
	ds_read2_b64 v[24:27], v4 offset0:54 offset1:145
	v_add_u32_e32 v4, 0x800, v69
	ds_read2_b64 v[28:31], v4 offset0:108 offset1:199
	v_add_u32_e32 v4, 0x1000, v69
	ds_read2_b64 v[20:23], v69 offset1:91
	ds_read2_b64 v[4:7], v4 offset0:34 offset1:125
	s_or_b64 exec, exec, s[4:5]
	s_and_b64 s[0:1], vcc, s[0:1]
	s_and_saveexec_b64 s[4:5], s[0:1]
	s_cbranch_execz .LBB0_19
.LBB0_21:
	v_mul_u32_u24_e32 v32, 7, v68
	v_lshlrev_b32_e32 v60, 4, v32
	global_load_dwordx4 v[32:35], v60, s[8:9] offset:1264
	global_load_dwordx4 v[36:39], v60, s[8:9] offset:1328
	global_load_dwordx4 v[40:43], v60, s[8:9] offset:1296
	global_load_dwordx4 v[44:47], v60, s[8:9] offset:1248
	global_load_dwordx4 v[48:51], v60, s[8:9] offset:1312
	global_load_dwordx4 v[52:55], v60, s[8:9] offset:1280
	global_load_dwordx4 v[56:59], v60, s[8:9] offset:1344
	v_mul_lo_u32 v62, s3, v70
	v_mul_lo_u32 v63, s2, v71
	v_mad_u64_u32 v[60:61], s[0:1], s2, v70, 0
	v_add3_u32 v61, v61, v63, v62
	s_mov_b32 s0, 0x667f3bcd
	s_mov_b32 s1, 0x3fe6a09e
	s_mov_b32 s3, 0xbfe6a09e
	s_mov_b32 s2, s0
	v_mov_b32_e32 v69, 0
	s_waitcnt vmcnt(6) lgkmcnt(3)
	v_mul_f64 v[62:63], v[24:25], v[34:35]
	s_waitcnt vmcnt(5) lgkmcnt(0)
	v_mul_f64 v[64:65], v[4:5], v[38:39]
	s_waitcnt vmcnt(4)
	v_mul_f64 v[70:71], v[28:29], v[40:41]
	s_waitcnt vmcnt(3)
	;; [unrolled: 2-line block ×5, first 2 shown]
	v_mul_f64 v[78:79], v[6:7], v[56:57]
	v_mul_f64 v[46:47], v[10:11], v[46:47]
	;; [unrolled: 1-line block ×8, first 2 shown]
	v_fma_f64 v[12:13], v[12:13], v[32:33], -v[62:63]
	v_fma_f64 v[0:1], v[0:1], v[36:37], -v[64:65]
	v_fmac_f64_e32 v[70:71], v[16:17], v[42:43]
	v_fmac_f64_e32 v[76:77], v[14:15], v[54:55]
	;; [unrolled: 1-line block ×5, first 2 shown]
	v_fma_f64 v[14:15], v[14:15], v[52:53], -v[26:27]
	v_fma_f64 v[2:3], v[2:3], v[56:57], -v[6:7]
	;; [unrolled: 1-line block ×5, first 2 shown]
	v_fmac_f64_e32 v[34:35], v[24:25], v[32:33]
	v_fmac_f64_e32 v[38:39], v[4:5], v[36:37]
	v_add_f64 v[0:1], v[12:13], -v[0:1]
	v_add_f64 v[4:5], v[20:21], -v[70:71]
	;; [unrolled: 1-line block ×8, first 2 shown]
	v_add_f64 v[26:27], v[0:1], v[4:5]
	v_add_f64 v[30:31], v[22:23], v[2:3]
	v_add_f64 v[28:29], v[16:17], -v[18:19]
	v_add_f64 v[32:33], v[6:7], -v[24:25]
	v_fma_f64 v[36:37], v[20:21], 2.0, -v[4:5]
	v_fma_f64 v[20:21], v[34:35], 2.0, -v[24:25]
	;; [unrolled: 1-line block ×8, first 2 shown]
	v_fma_f64 v[2:3], s[0:1], v[30:31], v[26:27]
	v_add_f64 v[40:41], v[36:37], -v[20:21]
	v_add_f64 v[46:47], v[38:39], -v[12:13]
	v_fmac_f64_e32 v[2:3], s[0:1], v[28:29]
	v_fma_f64 v[0:1], s[0:1], v[28:29], v[32:33]
	v_fma_f64 v[20:21], v[4:5], 2.0, -v[26:27]
	v_fma_f64 v[48:49], v[16:17], 2.0, -v[28:29]
	;; [unrolled: 1-line block ×5, first 2 shown]
	v_add_f64 v[42:43], v[24:25], -v[10:11]
	v_add_f64 v[44:45], v[34:35], -v[8:9]
	v_fmac_f64_e32 v[0:1], s[2:3], v[30:31]
	v_add_f64 v[26:27], v[28:29], -v[26:27]
	v_fma_f64 v[22:23], v[22:23], 2.0, -v[30:31]
	v_fma_f64 v[50:51], v[6:7], 2.0, -v[32:33]
	;; [unrolled: 1-line block ×6, first 2 shown]
	v_lshl_add_u64 v[32:33], v[60:61], 4, s[6:7]
	v_add_f64 v[4:5], v[44:45], -v[46:47]
	v_fma_f64 v[10:11], s[2:3], v[22:23], v[20:21]
	v_fma_f64 v[8:9], s[2:3], v[48:49], v[50:51]
	v_add_f64 v[24:25], v[28:29], -v[24:25]
	v_lshl_add_u64 v[32:33], v[66:67], 4, v[32:33]
	v_add_f64 v[6:7], v[40:41], v[42:43]
	v_fma_f64 v[16:17], v[44:45], 2.0, -v[4:5]
	v_fmac_f64_e32 v[10:11], s[0:1], v[48:49]
	v_fmac_f64_e32 v[8:9], s[2:3], v[22:23]
	v_fma_f64 v[28:29], v[28:29], 2.0, -v[24:25]
	v_lshl_add_u64 v[32:33], v[68:69], 4, v[32:33]
	s_movk_i32 s0, 0x1000
	v_fma_f64 v[18:19], v[40:41], 2.0, -v[6:7]
	v_fma_f64 v[22:23], v[20:21], 2.0, -v[10:11]
	v_fma_f64 v[20:21], v[50:51], 2.0, -v[8:9]
	global_store_dwordx4 v[32:33], v[28:31], off
	global_store_dwordx4 v[32:33], v[20:23], off offset:1456
	global_store_dwordx4 v[32:33], v[16:19], off offset:2912
	s_nop 1
	v_add_co_u32_e32 v16, vcc, s0, v32
	s_nop 1
	v_addc_co_u32_e32 v17, vcc, 0, v33, vcc
	global_store_dwordx4 v[16:17], v[12:15], off offset:272
	global_store_dwordx4 v[16:17], v[24:27], off offset:1728
	;; [unrolled: 1-line block ×3, first 2 shown]
	s_nop 1
	v_add_co_u32_e32 v8, vcc, 0x2000, v32
	s_nop 1
	v_addc_co_u32_e32 v9, vcc, 0, v33, vcc
	global_store_dwordx4 v[8:9], v[4:7], off offset:544
	global_store_dwordx4 v[8:9], v[0:3], off offset:2000
	s_endpgm
	.section	.rodata,"a",@progbits
	.p2align	6, 0x0
	.amdhsa_kernel fft_rtc_fwd_len728_factors_13_7_8_wgs_104_tpt_104_halfLds_dp_op_CI_CI_unitstride_sbrr_dirReg
		.amdhsa_group_segment_fixed_size 0
		.amdhsa_private_segment_fixed_size 0
		.amdhsa_kernarg_size 104
		.amdhsa_user_sgpr_count 2
		.amdhsa_user_sgpr_dispatch_ptr 0
		.amdhsa_user_sgpr_queue_ptr 0
		.amdhsa_user_sgpr_kernarg_segment_ptr 1
		.amdhsa_user_sgpr_dispatch_id 0
		.amdhsa_user_sgpr_kernarg_preload_length 0
		.amdhsa_user_sgpr_kernarg_preload_offset 0
		.amdhsa_user_sgpr_private_segment_size 0
		.amdhsa_uses_dynamic_stack 0
		.amdhsa_enable_private_segment 0
		.amdhsa_system_sgpr_workgroup_id_x 1
		.amdhsa_system_sgpr_workgroup_id_y 0
		.amdhsa_system_sgpr_workgroup_id_z 0
		.amdhsa_system_sgpr_workgroup_info 0
		.amdhsa_system_vgpr_workitem_id 0
		.amdhsa_next_free_vgpr 122
		.amdhsa_next_free_sgpr 44
		.amdhsa_accum_offset 124
		.amdhsa_reserve_vcc 1
		.amdhsa_float_round_mode_32 0
		.amdhsa_float_round_mode_16_64 0
		.amdhsa_float_denorm_mode_32 3
		.amdhsa_float_denorm_mode_16_64 3
		.amdhsa_dx10_clamp 1
		.amdhsa_ieee_mode 1
		.amdhsa_fp16_overflow 0
		.amdhsa_tg_split 0
		.amdhsa_exception_fp_ieee_invalid_op 0
		.amdhsa_exception_fp_denorm_src 0
		.amdhsa_exception_fp_ieee_div_zero 0
		.amdhsa_exception_fp_ieee_overflow 0
		.amdhsa_exception_fp_ieee_underflow 0
		.amdhsa_exception_fp_ieee_inexact 0
		.amdhsa_exception_int_div_zero 0
	.end_amdhsa_kernel
	.text
.Lfunc_end0:
	.size	fft_rtc_fwd_len728_factors_13_7_8_wgs_104_tpt_104_halfLds_dp_op_CI_CI_unitstride_sbrr_dirReg, .Lfunc_end0-fft_rtc_fwd_len728_factors_13_7_8_wgs_104_tpt_104_halfLds_dp_op_CI_CI_unitstride_sbrr_dirReg
                                        ; -- End function
	.section	.AMDGPU.csdata,"",@progbits
; Kernel info:
; codeLenInByte = 7836
; NumSgprs: 50
; NumVgprs: 122
; NumAgprs: 0
; TotalNumVgprs: 122
; ScratchSize: 0
; MemoryBound: 1
; FloatMode: 240
; IeeeMode: 1
; LDSByteSize: 0 bytes/workgroup (compile time only)
; SGPRBlocks: 6
; VGPRBlocks: 15
; NumSGPRsForWavesPerEU: 50
; NumVGPRsForWavesPerEU: 122
; AccumOffset: 124
; Occupancy: 4
; WaveLimiterHint : 1
; COMPUTE_PGM_RSRC2:SCRATCH_EN: 0
; COMPUTE_PGM_RSRC2:USER_SGPR: 2
; COMPUTE_PGM_RSRC2:TRAP_HANDLER: 0
; COMPUTE_PGM_RSRC2:TGID_X_EN: 1
; COMPUTE_PGM_RSRC2:TGID_Y_EN: 0
; COMPUTE_PGM_RSRC2:TGID_Z_EN: 0
; COMPUTE_PGM_RSRC2:TIDIG_COMP_CNT: 0
; COMPUTE_PGM_RSRC3_GFX90A:ACCUM_OFFSET: 30
; COMPUTE_PGM_RSRC3_GFX90A:TG_SPLIT: 0
	.text
	.p2alignl 6, 3212836864
	.fill 256, 4, 3212836864
	.type	__hip_cuid_5edba55c6db512aa,@object ; @__hip_cuid_5edba55c6db512aa
	.section	.bss,"aw",@nobits
	.globl	__hip_cuid_5edba55c6db512aa
__hip_cuid_5edba55c6db512aa:
	.byte	0                               ; 0x0
	.size	__hip_cuid_5edba55c6db512aa, 1

	.ident	"AMD clang version 19.0.0git (https://github.com/RadeonOpenCompute/llvm-project roc-6.4.0 25133 c7fe45cf4b819c5991fe208aaa96edf142730f1d)"
	.section	".note.GNU-stack","",@progbits
	.addrsig
	.addrsig_sym __hip_cuid_5edba55c6db512aa
	.amdgpu_metadata
---
amdhsa.kernels:
  - .agpr_count:     0
    .args:
      - .actual_access:  read_only
        .address_space:  global
        .offset:         0
        .size:           8
        .value_kind:     global_buffer
      - .offset:         8
        .size:           8
        .value_kind:     by_value
      - .actual_access:  read_only
        .address_space:  global
        .offset:         16
        .size:           8
        .value_kind:     global_buffer
      - .actual_access:  read_only
        .address_space:  global
        .offset:         24
        .size:           8
        .value_kind:     global_buffer
      - .actual_access:  read_only
        .address_space:  global
        .offset:         32
        .size:           8
        .value_kind:     global_buffer
      - .offset:         40
        .size:           8
        .value_kind:     by_value
      - .actual_access:  read_only
        .address_space:  global
        .offset:         48
        .size:           8
        .value_kind:     global_buffer
      - .actual_access:  read_only
        .address_space:  global
        .offset:         56
        .size:           8
        .value_kind:     global_buffer
      - .offset:         64
        .size:           4
        .value_kind:     by_value
      - .actual_access:  read_only
        .address_space:  global
        .offset:         72
        .size:           8
        .value_kind:     global_buffer
      - .actual_access:  read_only
        .address_space:  global
        .offset:         80
        .size:           8
        .value_kind:     global_buffer
      - .actual_access:  read_only
        .address_space:  global
        .offset:         88
        .size:           8
        .value_kind:     global_buffer
      - .actual_access:  write_only
        .address_space:  global
        .offset:         96
        .size:           8
        .value_kind:     global_buffer
    .group_segment_fixed_size: 0
    .kernarg_segment_align: 8
    .kernarg_segment_size: 104
    .language:       OpenCL C
    .language_version:
      - 2
      - 0
    .max_flat_workgroup_size: 104
    .name:           fft_rtc_fwd_len728_factors_13_7_8_wgs_104_tpt_104_halfLds_dp_op_CI_CI_unitstride_sbrr_dirReg
    .private_segment_fixed_size: 0
    .sgpr_count:     50
    .sgpr_spill_count: 0
    .symbol:         fft_rtc_fwd_len728_factors_13_7_8_wgs_104_tpt_104_halfLds_dp_op_CI_CI_unitstride_sbrr_dirReg.kd
    .uniform_work_group_size: 1
    .uses_dynamic_stack: false
    .vgpr_count:     122
    .vgpr_spill_count: 0
    .wavefront_size: 64
amdhsa.target:   amdgcn-amd-amdhsa--gfx950
amdhsa.version:
  - 1
  - 2
...

	.end_amdgpu_metadata
